;; amdgpu-corpus repo=llvm/llvm-project kind=harvested arch=n/a opt=n/a
// NOTE: Assertions have been autogenerated by utils/update_mc_test_checks.py UTC_ARGS: --version 5
// RUN: llvm-mc -triple=amdgcn -mcpu=gfx900 -filetype=null %s 2>&1 | FileCheck %s

v_floor_f64 v[0:1], 1.23456
// CHECK: :[[@LINE-1]]:1: warning: Can't encode literal as exact 64-bit floating-point operand. Low 32-bits will be set to zero
